;; amdgpu-corpus repo=ROCm/rocFFT kind=compiled arch=gfx1030 opt=O3
	.text
	.amdgcn_target "amdgcn-amd-amdhsa--gfx1030"
	.amdhsa_code_object_version 6
	.protected	fft_rtc_fwd_len130_factors_13_10_wgs_52_tpt_13_dp_ip_CI_unitstride_sbrr_C2R_dirReg ; -- Begin function fft_rtc_fwd_len130_factors_13_10_wgs_52_tpt_13_dp_ip_CI_unitstride_sbrr_C2R_dirReg
	.globl	fft_rtc_fwd_len130_factors_13_10_wgs_52_tpt_13_dp_ip_CI_unitstride_sbrr_C2R_dirReg
	.p2align	8
	.type	fft_rtc_fwd_len130_factors_13_10_wgs_52_tpt_13_dp_ip_CI_unitstride_sbrr_C2R_dirReg,@function
fft_rtc_fwd_len130_factors_13_10_wgs_52_tpt_13_dp_ip_CI_unitstride_sbrr_C2R_dirReg: ; @fft_rtc_fwd_len130_factors_13_10_wgs_52_tpt_13_dp_ip_CI_unitstride_sbrr_C2R_dirReg
; %bb.0:
	s_clause 0x2
	s_load_dwordx4 s[8:11], s[4:5], 0x0
	s_load_dwordx2 s[2:3], s[4:5], 0x50
	s_load_dwordx2 s[12:13], s[4:5], 0x18
	v_mul_u32_u24_e32 v1, 0x13b2, v0
	v_mov_b32_e32 v3, 0
	v_lshrrev_b32_e32 v9, 16, v1
	v_mov_b32_e32 v1, 0
	v_mov_b32_e32 v6, v3
	v_mov_b32_e32 v2, 0
	v_lshl_add_u32 v5, s6, 2, v9
	s_waitcnt lgkmcnt(0)
	v_cmp_lt_u64_e64 s0, s[10:11], 2
	s_and_b32 vcc_lo, exec_lo, s0
	s_cbranch_vccnz .LBB0_8
; %bb.1:
	s_load_dwordx2 s[0:1], s[4:5], 0x10
	v_mov_b32_e32 v1, 0
	s_add_u32 s6, s12, 8
	v_mov_b32_e32 v2, 0
	s_addc_u32 s7, s13, 0
	s_mov_b64 s[16:17], 1
	s_waitcnt lgkmcnt(0)
	s_add_u32 s14, s0, 8
	s_addc_u32 s15, s1, 0
.LBB0_2:                                ; =>This Inner Loop Header: Depth=1
	s_load_dwordx2 s[18:19], s[14:15], 0x0
                                        ; implicit-def: $vgpr7_vgpr8
	s_mov_b32 s0, exec_lo
	s_waitcnt lgkmcnt(0)
	v_or_b32_e32 v4, s19, v6
	v_cmpx_ne_u64_e32 0, v[3:4]
	s_xor_b32 s1, exec_lo, s0
	s_cbranch_execz .LBB0_4
; %bb.3:                                ;   in Loop: Header=BB0_2 Depth=1
	v_cvt_f32_u32_e32 v4, s18
	v_cvt_f32_u32_e32 v7, s19
	s_sub_u32 s0, 0, s18
	s_subb_u32 s20, 0, s19
	v_fmac_f32_e32 v4, 0x4f800000, v7
	v_rcp_f32_e32 v4, v4
	v_mul_f32_e32 v4, 0x5f7ffffc, v4
	v_mul_f32_e32 v7, 0x2f800000, v4
	v_trunc_f32_e32 v7, v7
	v_fmac_f32_e32 v4, 0xcf800000, v7
	v_cvt_u32_f32_e32 v7, v7
	v_cvt_u32_f32_e32 v4, v4
	v_mul_lo_u32 v8, s0, v7
	v_mul_hi_u32 v10, s0, v4
	v_mul_lo_u32 v11, s20, v4
	v_add_nc_u32_e32 v8, v10, v8
	v_mul_lo_u32 v10, s0, v4
	v_add_nc_u32_e32 v8, v8, v11
	v_mul_hi_u32 v11, v4, v10
	v_mul_lo_u32 v12, v4, v8
	v_mul_hi_u32 v13, v4, v8
	v_mul_hi_u32 v14, v7, v10
	v_mul_lo_u32 v10, v7, v10
	v_mul_hi_u32 v15, v7, v8
	v_mul_lo_u32 v8, v7, v8
	v_add_co_u32 v11, vcc_lo, v11, v12
	v_add_co_ci_u32_e32 v12, vcc_lo, 0, v13, vcc_lo
	v_add_co_u32 v10, vcc_lo, v11, v10
	v_add_co_ci_u32_e32 v10, vcc_lo, v12, v14, vcc_lo
	v_add_co_ci_u32_e32 v11, vcc_lo, 0, v15, vcc_lo
	v_add_co_u32 v8, vcc_lo, v10, v8
	v_add_co_ci_u32_e32 v10, vcc_lo, 0, v11, vcc_lo
	v_add_co_u32 v4, vcc_lo, v4, v8
	v_add_co_ci_u32_e32 v7, vcc_lo, v7, v10, vcc_lo
	v_mul_hi_u32 v8, s0, v4
	v_mul_lo_u32 v11, s20, v4
	v_mul_lo_u32 v10, s0, v7
	v_add_nc_u32_e32 v8, v8, v10
	v_mul_lo_u32 v10, s0, v4
	v_add_nc_u32_e32 v8, v8, v11
	v_mul_hi_u32 v11, v4, v10
	v_mul_lo_u32 v12, v4, v8
	v_mul_hi_u32 v13, v4, v8
	v_mul_hi_u32 v14, v7, v10
	v_mul_lo_u32 v10, v7, v10
	v_mul_hi_u32 v15, v7, v8
	v_mul_lo_u32 v8, v7, v8
	v_add_co_u32 v11, vcc_lo, v11, v12
	v_add_co_ci_u32_e32 v12, vcc_lo, 0, v13, vcc_lo
	v_add_co_u32 v10, vcc_lo, v11, v10
	v_add_co_ci_u32_e32 v10, vcc_lo, v12, v14, vcc_lo
	v_add_co_ci_u32_e32 v11, vcc_lo, 0, v15, vcc_lo
	v_add_co_u32 v8, vcc_lo, v10, v8
	v_add_co_ci_u32_e32 v10, vcc_lo, 0, v11, vcc_lo
	v_add_co_u32 v4, vcc_lo, v4, v8
	v_add_co_ci_u32_e32 v12, vcc_lo, v7, v10, vcc_lo
	v_mul_hi_u32 v14, v5, v4
	v_mad_u64_u32 v[10:11], null, v6, v4, 0
	v_mad_u64_u32 v[7:8], null, v5, v12, 0
	;; [unrolled: 1-line block ×3, first 2 shown]
	v_add_co_u32 v4, vcc_lo, v14, v7
	v_add_co_ci_u32_e32 v7, vcc_lo, 0, v8, vcc_lo
	v_add_co_u32 v4, vcc_lo, v4, v10
	v_add_co_ci_u32_e32 v4, vcc_lo, v7, v11, vcc_lo
	v_add_co_ci_u32_e32 v7, vcc_lo, 0, v13, vcc_lo
	v_add_co_u32 v4, vcc_lo, v4, v12
	v_add_co_ci_u32_e32 v10, vcc_lo, 0, v7, vcc_lo
	v_mul_lo_u32 v11, s19, v4
	v_mad_u64_u32 v[7:8], null, s18, v4, 0
	v_mul_lo_u32 v12, s18, v10
	v_sub_co_u32 v7, vcc_lo, v5, v7
	v_add3_u32 v8, v8, v12, v11
	v_sub_nc_u32_e32 v11, v6, v8
	v_subrev_co_ci_u32_e64 v11, s0, s19, v11, vcc_lo
	v_add_co_u32 v12, s0, v4, 2
	v_add_co_ci_u32_e64 v13, s0, 0, v10, s0
	v_sub_co_u32 v14, s0, v7, s18
	v_sub_co_ci_u32_e32 v8, vcc_lo, v6, v8, vcc_lo
	v_subrev_co_ci_u32_e64 v11, s0, 0, v11, s0
	v_cmp_le_u32_e32 vcc_lo, s18, v14
	v_cmp_eq_u32_e64 s0, s19, v8
	v_cndmask_b32_e64 v14, 0, -1, vcc_lo
	v_cmp_le_u32_e32 vcc_lo, s19, v11
	v_cndmask_b32_e64 v15, 0, -1, vcc_lo
	v_cmp_le_u32_e32 vcc_lo, s18, v7
	;; [unrolled: 2-line block ×3, first 2 shown]
	v_cndmask_b32_e64 v16, 0, -1, vcc_lo
	v_cmp_eq_u32_e32 vcc_lo, s19, v11
	v_cndmask_b32_e64 v7, v16, v7, s0
	v_cndmask_b32_e32 v11, v15, v14, vcc_lo
	v_add_co_u32 v14, vcc_lo, v4, 1
	v_add_co_ci_u32_e32 v15, vcc_lo, 0, v10, vcc_lo
	v_cmp_ne_u32_e32 vcc_lo, 0, v11
	v_cndmask_b32_e32 v8, v15, v13, vcc_lo
	v_cndmask_b32_e32 v11, v14, v12, vcc_lo
	v_cmp_ne_u32_e32 vcc_lo, 0, v7
	v_cndmask_b32_e32 v8, v10, v8, vcc_lo
	v_cndmask_b32_e32 v7, v4, v11, vcc_lo
.LBB0_4:                                ;   in Loop: Header=BB0_2 Depth=1
	s_andn2_saveexec_b32 s0, s1
	s_cbranch_execz .LBB0_6
; %bb.5:                                ;   in Loop: Header=BB0_2 Depth=1
	v_cvt_f32_u32_e32 v4, s18
	s_sub_i32 s1, 0, s18
	v_rcp_iflag_f32_e32 v4, v4
	v_mul_f32_e32 v4, 0x4f7ffffe, v4
	v_cvt_u32_f32_e32 v4, v4
	v_mul_lo_u32 v7, s1, v4
	v_mul_hi_u32 v7, v4, v7
	v_add_nc_u32_e32 v4, v4, v7
	v_mul_hi_u32 v4, v5, v4
	v_mul_lo_u32 v7, v4, s18
	v_add_nc_u32_e32 v8, 1, v4
	v_sub_nc_u32_e32 v7, v5, v7
	v_subrev_nc_u32_e32 v10, s18, v7
	v_cmp_le_u32_e32 vcc_lo, s18, v7
	v_cndmask_b32_e32 v7, v7, v10, vcc_lo
	v_cndmask_b32_e32 v4, v4, v8, vcc_lo
	v_cmp_le_u32_e32 vcc_lo, s18, v7
	v_add_nc_u32_e32 v8, 1, v4
	v_cndmask_b32_e32 v7, v4, v8, vcc_lo
	v_mov_b32_e32 v8, v3
.LBB0_6:                                ;   in Loop: Header=BB0_2 Depth=1
	s_or_b32 exec_lo, exec_lo, s0
	s_load_dwordx2 s[0:1], s[6:7], 0x0
	v_mul_lo_u32 v4, v8, s18
	v_mul_lo_u32 v12, v7, s19
	v_mad_u64_u32 v[10:11], null, v7, s18, 0
	s_add_u32 s16, s16, 1
	s_addc_u32 s17, s17, 0
	s_add_u32 s6, s6, 8
	s_addc_u32 s7, s7, 0
	;; [unrolled: 2-line block ×3, first 2 shown]
	v_add3_u32 v4, v11, v12, v4
	v_sub_co_u32 v5, vcc_lo, v5, v10
	v_sub_co_ci_u32_e32 v4, vcc_lo, v6, v4, vcc_lo
	s_waitcnt lgkmcnt(0)
	v_mul_lo_u32 v6, s1, v5
	v_mul_lo_u32 v4, s0, v4
	v_mad_u64_u32 v[1:2], null, s0, v5, v[1:2]
	v_cmp_ge_u64_e64 s0, s[16:17], s[10:11]
	s_and_b32 vcc_lo, exec_lo, s0
	v_add3_u32 v2, v6, v2, v4
	s_cbranch_vccnz .LBB0_9
; %bb.7:                                ;   in Loop: Header=BB0_2 Depth=1
	v_mov_b32_e32 v5, v7
	v_mov_b32_e32 v6, v8
	s_branch .LBB0_2
.LBB0_8:
	v_mov_b32_e32 v8, v6
	v_mov_b32_e32 v7, v5
.LBB0_9:
	s_lshl_b64 s[0:1], s[10:11], 3
	v_mul_hi_u32 v4, 0x13b13b14, v0
	s_add_u32 s0, s12, s0
	s_addc_u32 s1, s13, s1
	s_load_dwordx2 s[0:1], s[0:1], 0x0
	s_load_dwordx2 s[4:5], s[4:5], 0x20
	v_mul_u32_u24_e32 v4, 13, v4
	v_sub_nc_u32_e32 v52, v0, v4
	s_waitcnt lgkmcnt(0)
	v_mul_lo_u32 v5, s0, v8
	v_mul_lo_u32 v6, s1, v7
	v_mad_u64_u32 v[2:3], null, s0, v7, v[1:2]
	v_and_b32_e32 v1, 3, v9
	v_cmp_gt_u64_e32 vcc_lo, s[4:5], v[7:8]
	v_mul_u32_u24_e32 v1, 0x83, v1
	v_add3_u32 v3, v6, v3, v5
	v_lshlrev_b32_e32 v70, 4, v1
	v_lshlrev_b64 v[54:55], 4, v[2:3]
	s_and_saveexec_b32 s1, vcc_lo
	s_cbranch_execz .LBB0_13
; %bb.10:
	v_mov_b32_e32 v53, 0
	v_add_co_u32 v0, s0, s2, v54
	v_add_co_ci_u32_e64 v2, s0, s3, v55, s0
	v_lshlrev_b64 v[3:4], 4, v[52:53]
	s_mov_b32 s4, exec_lo
	v_add_co_u32 v40, s0, v0, v3
	v_add_co_ci_u32_e64 v41, s0, v2, v4, s0
	v_lshlrev_b32_e32 v3, 4, v52
	s_clause 0x9
	global_load_dwordx4 v[4:7], v[40:41], off
	global_load_dwordx4 v[8:11], v[40:41], off offset:208
	global_load_dwordx4 v[12:15], v[40:41], off offset:416
	;; [unrolled: 1-line block ×9, first 2 shown]
	v_add3_u32 v3, 0, v70, v3
	s_waitcnt vmcnt(9)
	ds_write_b128 v3, v[4:7]
	s_waitcnt vmcnt(8)
	ds_write_b128 v3, v[8:11] offset:208
	s_waitcnt vmcnt(7)
	ds_write_b128 v3, v[12:15] offset:416
	;; [unrolled: 2-line block ×9, first 2 shown]
	v_cmpx_eq_u32_e32 12, v52
	s_cbranch_execz .LBB0_12
; %bb.11:
	v_add_co_u32 v4, s0, 0x800, v0
	v_add_co_ci_u32_e64 v5, s0, 0, v2, s0
	v_mov_b32_e32 v52, 12
	global_load_dwordx4 v[4:7], v[4:5], off offset:32
	s_waitcnt vmcnt(0)
	ds_write_b128 v3, v[4:7] offset:1888
.LBB0_12:
	s_or_b32 exec_lo, exec_lo, s4
.LBB0_13:
	s_or_b32 exec_lo, exec_lo, s1
	v_lshl_add_u32 v68, v1, 4, 0
	v_lshlrev_b32_e32 v6, 4, v52
	s_waitcnt lgkmcnt(0)
	s_barrier
	buffer_gl0_inv
	s_mov_b32 s1, exec_lo
	v_add_nc_u32_e32 v69, v68, v6
	v_sub_nc_u32_e32 v7, v68, v6
	ds_read_b64 v[2:3], v69
	ds_read_b64 v[4:5], v7 offset:2080
	s_waitcnt lgkmcnt(0)
	v_add_f64 v[0:1], v[2:3], v[4:5]
	v_add_f64 v[2:3], v[2:3], -v[4:5]
                                        ; implicit-def: $vgpr4_vgpr5
	v_cmpx_ne_u32_e32 0, v52
	s_xor_b32 s1, exec_lo, s1
	s_cbranch_execz .LBB0_15
; %bb.14:
	v_mov_b32_e32 v53, 0
	v_lshlrev_b64 v[4:5], 4, v[52:53]
	v_add_co_u32 v4, s0, s8, v4
	v_add_co_ci_u32_e64 v5, s0, s9, v5, s0
	global_load_dwordx4 v[8:11], v[4:5], off offset:1872
	ds_read_b64 v[4:5], v7 offset:2088
	ds_read_b64 v[12:13], v69 offset:8
	s_waitcnt lgkmcnt(0)
	v_add_f64 v[14:15], v[4:5], v[12:13]
	v_add_f64 v[4:5], v[12:13], -v[4:5]
	s_waitcnt vmcnt(0)
	v_fma_f64 v[12:13], v[2:3], v[10:11], v[0:1]
	v_fma_f64 v[16:17], v[14:15], v[10:11], v[4:5]
	v_fma_f64 v[0:1], -v[2:3], v[10:11], v[0:1]
	v_fma_f64 v[4:5], v[14:15], v[10:11], -v[4:5]
	v_fma_f64 v[10:11], -v[14:15], v[8:9], v[12:13]
	v_fma_f64 v[12:13], v[2:3], v[8:9], v[16:17]
	v_fma_f64 v[0:1], v[14:15], v[8:9], v[0:1]
	;; [unrolled: 1-line block ×3, first 2 shown]
	v_mov_b32_e32 v4, v52
	v_mov_b32_e32 v5, v53
	ds_write_b128 v69, v[10:13]
	ds_write_b128 v7, v[0:3] offset:2080
                                        ; implicit-def: $vgpr0_vgpr1
.LBB0_15:
	s_andn2_saveexec_b32 s0, s1
	s_cbranch_execz .LBB0_17
; %bb.16:
	ds_write_b128 v69, v[0:3]
	ds_read_b128 v[0:3], v68 offset:1040
	v_mov_b32_e32 v4, 0
	v_mov_b32_e32 v5, 0
	s_waitcnt lgkmcnt(0)
	v_add_f64 v[0:1], v[0:1], v[0:1]
	v_mul_f64 v[2:3], v[2:3], -2.0
	ds_write_b128 v68, v[0:3] offset:1040
.LBB0_17:
	s_or_b32 exec_lo, exec_lo, s0
	v_lshlrev_b64 v[0:1], 4, v[4:5]
	s_add_u32 s0, s8, 0x750
	s_addc_u32 s1, s9, 0
	v_add3_u32 v53, 0, v6, v70
	s_mov_b32 s33, exec_lo
	v_add_co_u32 v4, s0, s0, v0
	v_add_co_ci_u32_e64 v5, s0, s1, v1, s0
	s_clause 0x2
	global_load_dwordx4 v[0:3], v[4:5], off offset:208
	global_load_dwordx4 v[8:11], v[4:5], off offset:416
	;; [unrolled: 1-line block ×3, first 2 shown]
	ds_read_b128 v[16:19], v69 offset:208
	ds_read_b128 v[20:23], v7 offset:1872
	global_load_dwordx4 v[24:27], v[4:5], off offset:832
	s_waitcnt lgkmcnt(0)
	v_add_f64 v[4:5], v[16:17], v[20:21]
	v_add_f64 v[28:29], v[22:23], v[18:19]
	v_add_f64 v[20:21], v[16:17], -v[20:21]
	v_add_f64 v[16:17], v[18:19], -v[22:23]
	s_waitcnt vmcnt(3)
	v_fma_f64 v[18:19], v[20:21], v[2:3], v[4:5]
	v_fma_f64 v[22:23], v[28:29], v[2:3], v[16:17]
	v_fma_f64 v[30:31], -v[20:21], v[2:3], v[4:5]
	v_fma_f64 v[32:33], v[28:29], v[2:3], -v[16:17]
	v_fma_f64 v[2:3], -v[28:29], v[0:1], v[18:19]
	v_fma_f64 v[4:5], v[20:21], v[0:1], v[22:23]
	v_fma_f64 v[16:17], v[28:29], v[0:1], v[30:31]
	v_fma_f64 v[18:19], v[20:21], v[0:1], v[32:33]
	ds_write_b128 v69, v[2:5] offset:208
	ds_write_b128 v7, v[16:19] offset:1872
	ds_read_b128 v[0:3], v69 offset:416
	ds_read_b128 v[16:19], v7 offset:1664
	s_waitcnt lgkmcnt(0)
	v_add_f64 v[4:5], v[0:1], v[16:17]
	v_add_f64 v[20:21], v[18:19], v[2:3]
	v_add_f64 v[22:23], v[0:1], -v[16:17]
	v_add_f64 v[0:1], v[2:3], -v[18:19]
	s_waitcnt vmcnt(2)
	v_fma_f64 v[2:3], v[22:23], v[10:11], v[4:5]
	v_fma_f64 v[16:17], v[20:21], v[10:11], v[0:1]
	v_fma_f64 v[4:5], -v[22:23], v[10:11], v[4:5]
	v_fma_f64 v[10:11], v[20:21], v[10:11], -v[0:1]
	v_fma_f64 v[0:1], -v[20:21], v[8:9], v[2:3]
	v_fma_f64 v[2:3], v[22:23], v[8:9], v[16:17]
	v_fma_f64 v[16:17], v[20:21], v[8:9], v[4:5]
	v_fma_f64 v[18:19], v[22:23], v[8:9], v[10:11]
	ds_write_b128 v69, v[0:3] offset:416
	ds_write_b128 v7, v[16:19] offset:1664
	ds_read_b128 v[0:3], v69 offset:624
	ds_read_b128 v[8:11], v7 offset:1456
	s_waitcnt lgkmcnt(0)
	v_add_f64 v[4:5], v[0:1], v[8:9]
	v_add_f64 v[16:17], v[10:11], v[2:3]
	v_add_f64 v[18:19], v[0:1], -v[8:9]
	v_add_f64 v[0:1], v[2:3], -v[10:11]
	s_waitcnt vmcnt(1)
	v_fma_f64 v[2:3], v[18:19], v[14:15], v[4:5]
	v_fma_f64 v[8:9], v[16:17], v[14:15], v[0:1]
	v_fma_f64 v[4:5], -v[18:19], v[14:15], v[4:5]
	v_fma_f64 v[10:11], v[16:17], v[14:15], -v[0:1]
	v_fma_f64 v[0:1], -v[16:17], v[12:13], v[2:3]
	v_fma_f64 v[2:3], v[18:19], v[12:13], v[8:9]
	v_fma_f64 v[8:9], v[16:17], v[12:13], v[4:5]
	v_fma_f64 v[10:11], v[18:19], v[12:13], v[10:11]
	ds_write_b128 v69, v[0:3] offset:624
	ds_write_b128 v7, v[8:11] offset:1456
	ds_read_b128 v[0:3], v69 offset:832
	ds_read_b128 v[8:11], v7 offset:1248
	s_waitcnt lgkmcnt(0)
	v_add_f64 v[4:5], v[0:1], v[8:9]
	v_add_f64 v[12:13], v[10:11], v[2:3]
	v_add_f64 v[14:15], v[0:1], -v[8:9]
	v_add_f64 v[0:1], v[2:3], -v[10:11]
	s_waitcnt vmcnt(0)
	v_fma_f64 v[2:3], v[14:15], v[26:27], v[4:5]
	v_fma_f64 v[8:9], v[12:13], v[26:27], v[0:1]
	v_fma_f64 v[4:5], -v[14:15], v[26:27], v[4:5]
	v_fma_f64 v[10:11], v[12:13], v[26:27], -v[0:1]
	v_fma_f64 v[0:1], -v[12:13], v[24:25], v[2:3]
	v_fma_f64 v[2:3], v[14:15], v[24:25], v[8:9]
	v_fma_f64 v[8:9], v[12:13], v[24:25], v[4:5]
	;; [unrolled: 1-line block ×3, first 2 shown]
	ds_write_b128 v69, v[0:3] offset:832
	ds_write_b128 v7, v[8:11] offset:1248
	s_waitcnt lgkmcnt(0)
	s_barrier
	buffer_gl0_inv
	s_barrier
	buffer_gl0_inv
	ds_read_b128 v[0:3], v69
	ds_read_b128 v[36:39], v53 offset:160
	ds_read_b128 v[24:27], v53 offset:320
	;; [unrolled: 1-line block ×12, first 2 shown]
	s_waitcnt lgkmcnt(0)
	s_barrier
	buffer_gl0_inv
	v_cmpx_gt_u32_e32 10, v52
	s_cbranch_execz .LBB0_19
; %bb.18:
	v_add_f64 v[56:57], v[2:3], v[38:39]
	v_add_f64 v[58:59], v[0:1], v[36:37]
	;; [unrolled: 1-line block ×3, first 2 shown]
	v_add_f64 v[73:74], v[38:39], -v[6:7]
	s_mov_b32 s0, 0x93053d00
	s_mov_b32 s4, 0x4bc48dbf
	;; [unrolled: 1-line block ×6, first 2 shown]
	v_add_f64 v[38:39], v[48:49], v[44:45]
	v_add_f64 v[79:80], v[36:37], -v[4:5]
	v_add_f64 v[83:84], v[36:37], v[4:5]
	s_mov_b32 s10, 0xe00740e9
	s_mov_b32 s12, 0x4267c47c
	s_mov_b32 s11, 0x3fec55a7
	s_mov_b32 s13, 0xbfddbe06
	s_mov_b32 s15, 0x3fddbe06
	s_mov_b32 s14, s12
	v_add_f64 v[60:61], v[42:43], v[30:31]
	v_add_f64 v[66:67], v[18:19], -v[14:15]
	s_mov_b32 s16, 0xd0032e0c
	v_add_f64 v[56:57], v[56:57], v[26:27]
	v_add_f64 v[58:59], v[58:59], v[24:25]
	v_mul_f64 v[81:82], v[71:72], s[0:1]
	v_mul_f64 v[85:86], v[73:74], s[6:7]
	s_mov_b32 s18, 0x24c2f84
	s_mov_b32 s17, 0xbfe7f3cc
	;; [unrolled: 1-line block ×5, first 2 shown]
	v_add_f64 v[36:37], v[32:33], -v[20:21]
	s_mov_b32 s22, 0x1ea71119
	s_mov_b32 s26, 0x42a4c3d2
	;; [unrolled: 1-line block ×12, first 2 shown]
	v_add_f64 v[56:57], v[56:57], v[18:19]
	v_add_f64 v[58:59], v[58:59], v[16:17]
	s_mov_b32 s31, 0xbfedeba7
	v_fma_f64 v[89:90], v[83:84], s[0:1], v[85:86]
	s_mov_b32 s35, 0x3fbedb7d
	s_mov_b32 s41, 0xbfefc445
	;; [unrolled: 1-line block ×3, first 2 shown]
	v_mul_f64 v[95:96], v[71:72], s[28:29]
	v_mul_f64 v[103:104], v[71:72], s[34:35]
	;; [unrolled: 1-line block ×6, first 2 shown]
	s_mov_b32 s39, 0x3fefc445
	s_mov_b32 s38, s40
	v_fma_f64 v[85:86], v[83:84], s[0:1], -v[85:86]
	v_add_f64 v[56:57], v[56:57], v[34:35]
	v_add_f64 v[58:59], v[58:59], v[32:33]
	;; [unrolled: 1-line block ×3, first 2 shown]
	v_fma_f64 v[121:122], v[79:80], s[38:39], v[103:104]
	v_fma_f64 v[123:124], v[83:84], s[34:35], v[105:106]
	;; [unrolled: 1-line block ×3, first 2 shown]
	v_fma_f64 v[105:106], v[83:84], s[34:35], -v[105:106]
	v_add_f64 v[85:86], v[0:1], v[85:86]
	v_add_f64 v[56:57], v[56:57], v[42:43]
	;; [unrolled: 1-line block ×3, first 2 shown]
	v_add_f64 v[42:43], v[42:43], -v[30:31]
	v_add_f64 v[121:122], v[2:3], v[121:122]
	v_add_f64 v[123:124], v[0:1], v[123:124]
	;; [unrolled: 1-line block ×6, first 2 shown]
	v_add_f64 v[56:57], v[48:49], -v[44:45]
	v_add_f64 v[48:49], v[40:41], -v[28:29]
	v_add_f64 v[40:41], v[40:41], v[28:29]
	v_add_f64 v[58:59], v[50:51], v[46:47]
	v_add_f64 v[50:51], v[50:51], -v[46:47]
	v_add_f64 v[75:76], v[62:63], v[46:47]
	v_add_f64 v[77:78], v[64:65], v[44:45]
	;; [unrolled: 1-line block ×3, first 2 shown]
	v_add_f64 v[44:45], v[26:27], -v[10:11]
	v_add_f64 v[64:65], v[18:19], v[14:15]
	v_add_f64 v[18:19], v[24:25], v[8:9]
	;; [unrolled: 1-line block ×4, first 2 shown]
	v_add_f64 v[34:35], v[34:35], -v[22:23]
	v_add_f64 v[32:33], v[16:17], -v[12:13]
	v_add_f64 v[16:17], v[16:17], v[12:13]
	v_add_f64 v[30:31], v[75:76], v[30:31]
	;; [unrolled: 1-line block ×3, first 2 shown]
	v_add_f64 v[28:29], v[24:25], -v[8:9]
	v_mul_f64 v[24:25], v[62:63], s[10:11]
	v_fma_f64 v[77:78], v[79:80], s[4:5], v[81:82]
	v_mul_f64 v[87:88], v[44:45], s[14:15]
	v_mul_f64 v[97:98], v[46:47], s[22:23]
	v_fma_f64 v[81:82], v[79:80], s[6:7], v[81:82]
	v_mul_f64 v[99:100], v[34:35], s[24:25]
	v_mul_f64 v[127:128], v[62:63], s[34:35]
	v_mul_f64 v[129:130], v[44:45], s[38:39]
	v_add_f64 v[22:23], v[30:31], v[22:23]
	v_add_f64 v[20:21], v[75:76], v[20:21]
	v_mul_f64 v[30:31], v[64:65], s[16:17]
	v_mul_f64 v[75:76], v[66:67], s[20:21]
	v_fma_f64 v[91:92], v[28:29], s[12:13], v[24:25]
	v_add_f64 v[77:78], v[2:3], v[77:78]
	v_fma_f64 v[93:94], v[18:19], s[10:11], v[87:88]
	v_fma_f64 v[117:118], v[36:37], s[26:27], v[97:98]
	v_add_f64 v[81:82], v[2:3], v[81:82]
	v_fma_f64 v[24:25], v[28:29], s[14:15], v[24:25]
	v_fma_f64 v[87:88], v[18:19], s[10:11], -v[87:88]
	v_fma_f64 v[97:98], v[36:37], s[24:25], v[97:98]
	v_add_f64 v[14:15], v[22:23], v[14:15]
	v_add_f64 v[12:13], v[20:21], v[12:13]
	v_fma_f64 v[101:102], v[32:33], s[18:19], v[30:31]
	v_mul_f64 v[20:21], v[71:72], s[16:17]
	v_mul_f64 v[22:23], v[73:74], s[20:21]
	v_add_f64 v[77:78], v[91:92], v[77:78]
	v_fma_f64 v[91:92], v[16:17], s[16:17], v[75:76]
	v_add_f64 v[89:90], v[93:94], v[89:90]
	v_mul_f64 v[93:94], v[73:74], s[30:31]
	v_mul_f64 v[71:72], v[71:72], s[10:11]
	;; [unrolled: 1-line block ×3, first 2 shown]
	v_add_f64 v[24:25], v[24:25], v[81:82]
	v_fma_f64 v[81:82], v[18:19], s[34:35], v[129:130]
	v_add_f64 v[85:86], v[87:88], v[85:86]
	v_mul_f64 v[87:88], v[44:45], s[18:19]
	v_fma_f64 v[30:31], v[32:33], s[20:21], v[30:31]
	v_fma_f64 v[75:76], v[16:17], s[16:17], -v[75:76]
	v_add_f64 v[10:11], v[14:15], v[10:11]
	v_add_f64 v[8:9], v[12:13], v[8:9]
	v_mul_f64 v[12:13], v[42:43], s[30:31]
	v_mul_f64 v[14:15], v[58:59], s[34:35]
	v_fma_f64 v[113:114], v[79:80], s[18:19], v[20:21]
	v_add_f64 v[77:78], v[101:102], v[77:78]
	v_fma_f64 v[101:102], v[26:27], s[22:23], v[99:100]
	v_add_f64 v[89:90], v[91:92], v[89:90]
	v_fma_f64 v[115:116], v[83:84], s[16:17], v[22:23]
	v_fma_f64 v[20:21], v[79:80], s[20:21], v[20:21]
	v_fma_f64 v[22:23], v[83:84], s[16:17], -v[22:23]
	v_fma_f64 v[91:92], v[79:80], s[36:37], v[95:96]
	v_fma_f64 v[119:120], v[83:84], s[28:29], v[93:94]
	;; [unrolled: 1-line block ×3, first 2 shown]
	v_fma_f64 v[93:94], v[83:84], s[28:29], -v[93:94]
	v_fma_f64 v[125:126], v[79:80], s[14:15], v[71:72]
	v_fma_f64 v[71:72], v[79:80], s[12:13], v[71:72]
	v_add_f64 v[24:25], v[30:31], v[24:25]
	v_mul_f64 v[30:31], v[66:67], s[14:15]
	v_add_f64 v[75:76], v[75:76], v[85:86]
	v_mul_f64 v[85:86], v[46:47], s[0:1]
	v_fma_f64 v[99:100], v[26:27], s[22:23], -v[99:100]
	v_add_f64 v[6:7], v[10:11], v[6:7]
	v_add_f64 v[4:5], v[8:9], v[4:5]
	v_fma_f64 v[8:9], v[79:80], s[24:25], v[107:108]
	v_fma_f64 v[10:11], v[83:84], s[22:23], v[109:110]
	;; [unrolled: 1-line block ×3, first 2 shown]
	v_fma_f64 v[109:110], v[83:84], s[22:23], -v[109:110]
	v_fma_f64 v[79:80], v[83:84], s[10:11], v[73:74]
	v_fma_f64 v[73:74], v[83:84], s[10:11], -v[73:74]
	v_fma_f64 v[83:84], v[48:49], s[36:37], v[111:112]
	v_add_f64 v[77:78], v[117:118], v[77:78]
	v_fma_f64 v[117:118], v[40:41], s[28:29], v[12:13]
	v_add_f64 v[89:90], v[101:102], v[89:90]
	v_mul_f64 v[101:102], v[50:51], s[38:39]
	v_add_f64 v[113:114], v[2:3], v[113:114]
	v_add_f64 v[115:116], v[0:1], v[115:116]
	;; [unrolled: 1-line block ×17, first 2 shown]
	v_mul_f64 v[97:98], v[42:43], s[14:15]
	v_add_f64 v[77:78], v[83:84], v[77:78]
	v_fma_f64 v[83:84], v[56:57], s[40:41], v[14:15]
	v_add_f64 v[89:90], v[117:118], v[89:90]
	v_fma_f64 v[117:118], v[38:39], s[34:35], v[101:102]
	v_add_f64 v[75:76], v[99:100], v[75:76]
	v_add_f64 v[81:82], v[81:82], v[115:116]
	v_mul_f64 v[115:116], v[64:65], s[22:23]
	v_mul_f64 v[99:100], v[46:47], s[34:35]
	v_fma_f64 v[111:112], v[48:49], s[30:31], v[111:112]
	v_fma_f64 v[12:13], v[40:41], s[28:29], -v[12:13]
	v_fma_f64 v[14:15], v[56:57], s[38:39], v[14:15]
	v_add_f64 v[2:3], v[83:84], v[77:78]
	v_mul_f64 v[77:78], v[62:63], s[16:17]
	v_add_f64 v[0:1], v[117:118], v[89:90]
	v_fma_f64 v[83:84], v[28:29], s[40:41], v[127:128]
	v_fma_f64 v[89:90], v[28:29], s[38:39], v[127:128]
	v_fma_f64 v[117:118], v[18:19], s[34:35], -v[129:130]
	v_add_f64 v[24:25], v[111:112], v[24:25]
	v_mul_f64 v[111:112], v[60:61], s[0:1]
	v_add_f64 v[12:13], v[12:13], v[75:76]
	v_add_f64 v[83:84], v[83:84], v[113:114]
	v_fma_f64 v[113:114], v[28:29], s[20:21], v[77:78]
	v_add_f64 v[20:21], v[89:90], v[20:21]
	v_fma_f64 v[89:90], v[18:19], s[16:17], v[87:88]
	v_fma_f64 v[77:78], v[28:29], s[18:19], v[77:78]
	v_add_f64 v[22:23], v[117:118], v[22:23]
	v_mul_f64 v[117:118], v[66:67], s[26:27]
	v_add_f64 v[91:92], v[113:114], v[91:92]
	v_mul_f64 v[113:114], v[64:65], s[10:11]
	v_add_f64 v[89:90], v[89:90], v[119:120]
	v_fma_f64 v[119:120], v[32:33], s[24:25], v[115:116]
	v_add_f64 v[77:78], v[77:78], v[95:96]
	v_fma_f64 v[95:96], v[16:17], s[22:23], v[117:118]
	v_fma_f64 v[115:116], v[32:33], s[26:27], v[115:116]
	v_fma_f64 v[117:118], v[16:17], s[22:23], -v[117:118]
	v_add_f64 v[83:84], v[119:120], v[83:84]
	v_fma_f64 v[119:120], v[32:33], s[12:13], v[113:114]
	v_add_f64 v[81:82], v[95:96], v[81:82]
	v_fma_f64 v[95:96], v[16:17], s[10:11], v[30:31]
	v_add_f64 v[20:21], v[115:116], v[20:21]
	v_mul_f64 v[115:116], v[34:35], s[4:5]
	v_add_f64 v[22:23], v[117:118], v[22:23]
	v_mul_f64 v[117:118], v[60:61], s[10:11]
	v_fma_f64 v[113:114], v[32:33], s[14:15], v[113:114]
	v_fma_f64 v[30:31], v[16:17], s[10:11], -v[30:31]
	v_add_f64 v[91:92], v[119:120], v[91:92]
	v_fma_f64 v[119:120], v[36:37], s[6:7], v[85:86]
	v_add_f64 v[89:90], v[95:96], v[89:90]
	v_fma_f64 v[85:86], v[36:37], s[4:5], v[85:86]
	v_fma_f64 v[95:96], v[26:27], s[0:1], v[115:116]
	v_fma_f64 v[115:116], v[26:27], s[0:1], -v[115:116]
	v_fma_f64 v[75:76], v[48:49], s[14:15], v[117:118]
	v_add_f64 v[77:78], v[113:114], v[77:78]
	v_mul_f64 v[113:114], v[42:43], s[4:5]
	v_add_f64 v[83:84], v[119:120], v[83:84]
	v_fma_f64 v[119:120], v[48:49], s[12:13], v[117:118]
	v_add_f64 v[20:21], v[85:86], v[20:21]
	v_add_f64 v[81:82], v[95:96], v[81:82]
	v_mul_f64 v[95:96], v[34:35], s[40:41]
	v_fma_f64 v[85:86], v[40:41], s[10:11], v[97:98]
	v_add_f64 v[22:23], v[115:116], v[22:23]
	v_fma_f64 v[115:116], v[36:37], s[38:39], v[99:100]
	v_fma_f64 v[97:98], v[40:41], s[10:11], -v[97:98]
	v_mul_f64 v[117:118], v[62:63], s[0:1]
	v_fma_f64 v[99:100], v[36:37], s[40:41], v[99:100]
	v_add_f64 v[83:84], v[119:120], v[83:84]
	v_mul_f64 v[119:120], v[44:45], s[6:7]
	v_add_f64 v[20:21], v[75:76], v[20:21]
	v_fma_f64 v[75:76], v[18:19], s[16:17], -v[87:88]
	v_add_f64 v[81:82], v[85:86], v[81:82]
	v_fma_f64 v[85:86], v[26:27], s[34:35], v[95:96]
	v_add_f64 v[91:92], v[115:116], v[91:92]
	v_fma_f64 v[115:116], v[48:49], s[6:7], v[111:112]
	;; [unrolled: 2-line block ×3, first 2 shown]
	v_mul_f64 v[97:98], v[64:65], s[28:29]
	v_add_f64 v[77:78], v[99:100], v[77:78]
	v_fma_f64 v[99:100], v[40:41], s[0:1], v[113:114]
	v_fma_f64 v[111:112], v[48:49], s[4:5], v[111:112]
	v_fma_f64 v[113:114], v[40:41], s[0:1], -v[113:114]
	v_add_f64 v[75:76], v[75:76], v[93:94]
	v_add_f64 v[85:86], v[85:86], v[89:90]
	v_fma_f64 v[89:90], v[18:19], s[0:1], v[119:120]
	v_add_f64 v[91:92], v[115:116], v[91:92]
	v_fma_f64 v[115:116], v[28:29], s[6:7], v[117:118]
	v_mul_f64 v[117:118], v[66:67], s[36:37]
	v_fma_f64 v[119:120], v[18:19], s[0:1], -v[119:120]
	v_add_f64 v[87:88], v[87:88], v[121:122]
	v_fma_f64 v[93:94], v[32:33], s[30:31], v[97:98]
	v_mul_f64 v[121:122], v[46:47], s[10:11]
	v_fma_f64 v[97:98], v[32:33], s[36:37], v[97:98]
	v_add_f64 v[77:78], v[111:112], v[77:78]
	v_mul_f64 v[111:112], v[64:65], s[0:1]
	v_mul_f64 v[64:65], v[64:65], s[34:35]
	v_add_f64 v[30:31], v[30:31], v[75:76]
	v_fma_f64 v[75:76], v[26:27], s[34:35], -v[95:96]
	v_add_f64 v[85:86], v[99:100], v[85:86]
	v_add_f64 v[89:90], v[89:90], v[123:124]
	v_mul_f64 v[123:124], v[62:63], s[28:29]
	v_add_f64 v[103:104], v[115:116], v[103:104]
	v_fma_f64 v[115:116], v[16:17], s[28:29], v[117:118]
	v_add_f64 v[105:106], v[119:120], v[105:106]
	v_mul_f64 v[119:120], v[34:35], s[14:15]
	v_fma_f64 v[117:118], v[16:17], s[28:29], -v[117:118]
	v_mul_f64 v[99:100], v[44:45], s[30:31]
	v_add_f64 v[87:88], v[93:94], v[87:88]
	v_fma_f64 v[93:94], v[36:37], s[12:13], v[121:122]
	v_mul_f64 v[62:63], v[62:63], s[22:23]
	v_mul_f64 v[44:45], v[44:45], s[26:27]
	v_add_f64 v[30:31], v[75:76], v[30:31]
	v_fma_f64 v[95:96], v[28:29], s[36:37], v[123:124]
	v_fma_f64 v[123:124], v[28:29], s[30:31], v[123:124]
	v_add_f64 v[89:90], v[115:116], v[89:90]
	v_add_f64 v[97:98], v[97:98], v[103:104]
	v_fma_f64 v[115:116], v[26:27], s[10:11], v[119:120]
	v_add_f64 v[105:106], v[117:118], v[105:106]
	v_fma_f64 v[117:118], v[26:27], s[10:11], -v[119:120]
	v_fma_f64 v[119:120], v[18:19], s[28:29], v[99:100]
	v_fma_f64 v[103:104], v[36:37], s[14:15], v[121:122]
	v_mul_f64 v[121:122], v[66:67], s[6:7]
	v_add_f64 v[75:76], v[93:94], v[87:88]
	v_fma_f64 v[87:88], v[32:33], s[4:5], v[111:112]
	v_mul_f64 v[93:94], v[60:61], s[22:23]
	v_mul_f64 v[66:67], v[66:67], s[40:41]
	v_fma_f64 v[111:112], v[32:33], s[6:7], v[111:112]
	v_add_f64 v[113:114], v[113:114], v[30:31]
	v_mul_f64 v[30:31], v[34:35], s[30:31]
	v_add_f64 v[8:9], v[95:96], v[8:9]
	v_fma_f64 v[95:96], v[18:19], s[28:29], -v[99:100]
	v_add_f64 v[107:108], v[123:124], v[107:108]
	v_fma_f64 v[123:124], v[18:19], s[22:23], -v[44:45]
	v_add_f64 v[89:90], v[115:116], v[89:90]
	v_mul_f64 v[115:116], v[46:47], s[16:17]
	v_mul_f64 v[99:100], v[42:43], s[26:27]
	v_add_f64 v[10:11], v[119:120], v[10:11]
	v_fma_f64 v[119:120], v[28:29], s[26:27], v[62:63]
	v_add_f64 v[97:98], v[103:104], v[97:98]
	v_add_f64 v[103:104], v[117:118], v[105:106]
	v_fma_f64 v[105:106], v[16:17], s[0:1], v[121:122]
	v_mul_f64 v[117:118], v[34:35], s[18:19]
	v_fma_f64 v[28:29], v[28:29], s[24:25], v[62:63]
	v_fma_f64 v[18:19], v[18:19], s[22:23], v[44:45]
	v_mul_f64 v[44:45], v[60:61], s[34:35]
	v_fma_f64 v[121:122], v[16:17], s[0:1], -v[121:122]
	v_mul_f64 v[46:47], v[46:47], s[28:29]
	v_mul_f64 v[60:61], v[60:61], s[16:17]
	v_add_f64 v[8:9], v[87:88], v[8:9]
	v_fma_f64 v[87:88], v[48:49], s[24:25], v[93:94]
	v_add_f64 v[95:96], v[95:96], v[109:110]
	v_fma_f64 v[93:94], v[48:49], s[26:27], v[93:94]
	;; [unrolled: 2-line block ×3, first 2 shown]
	v_fma_f64 v[123:124], v[16:17], s[34:35], -v[66:67]
	v_fma_f64 v[109:110], v[40:41], s[22:23], v[99:100]
	v_add_f64 v[71:72], v[119:120], v[71:72]
	v_fma_f64 v[119:120], v[32:33], s[40:41], v[64:65]
	v_fma_f64 v[99:100], v[40:41], s[22:23], -v[99:100]
	v_add_f64 v[10:11], v[105:106], v[10:11]
	v_fma_f64 v[105:106], v[26:27], s[16:17], v[117:118]
	v_add_f64 v[34:35], v[111:112], v[107:108]
	v_mul_f64 v[111:112], v[42:43], s[38:39]
	v_fma_f64 v[32:33], v[32:33], s[38:39], v[64:65]
	v_add_f64 v[28:29], v[28:29], v[125:126]
	v_fma_f64 v[16:17], v[16:17], s[34:35], v[66:67]
	v_add_f64 v[18:19], v[18:19], v[79:80]
	v_fma_f64 v[66:67], v[26:27], s[16:17], -v[117:118]
	v_mul_f64 v[42:43], v[42:43], s[20:21]
	v_fma_f64 v[107:108], v[36:37], s[18:19], v[115:116]
	v_add_f64 v[75:76], v[87:88], v[75:76]
	v_fma_f64 v[87:88], v[48:49], s[40:41], v[44:45]
	v_add_f64 v[79:80], v[93:94], v[97:98]
	v_fma_f64 v[97:98], v[26:27], s[28:29], -v[30:31]
	v_add_f64 v[8:9], v[62:63], v[8:9]
	v_add_f64 v[62:63], v[121:122], v[95:96]
	v_add_f64 v[73:74], v[123:124], v[73:74]
	v_fma_f64 v[95:96], v[36:37], s[30:31], v[46:47]
	v_add_f64 v[71:72], v[119:120], v[71:72]
	v_add_f64 v[93:94], v[99:100], v[103:104]
	v_fma_f64 v[36:37], v[36:37], s[36:37], v[46:47]
	v_add_f64 v[10:11], v[105:106], v[10:11]
	v_add_f64 v[64:65], v[109:110], v[89:90]
	v_fma_f64 v[99:100], v[40:41], s[34:35], v[111:112]
	v_mul_f64 v[89:90], v[58:59], s[28:29]
	v_add_f64 v[28:29], v[32:33], v[28:29]
	v_mul_f64 v[103:104], v[58:59], s[10:11]
	v_add_f64 v[16:17], v[16:17], v[18:19]
	v_mul_f64 v[105:106], v[50:51], s[6:7]
	v_fma_f64 v[44:45], v[48:49], s[38:39], v[44:45]
	v_add_f64 v[34:35], v[107:108], v[34:35]
	v_mul_f64 v[32:33], v[50:51], s[30:31]
	v_mul_f64 v[107:108], v[50:51], s[14:15]
	v_fma_f64 v[46:47], v[38:39], s[34:35], -v[101:102]
	v_add_f64 v[87:88], v[87:88], v[8:9]
	v_fma_f64 v[8:9], v[26:27], s[28:29], v[30:31]
	v_add_f64 v[18:19], v[66:67], v[62:63]
	v_mul_f64 v[30:31], v[58:59], s[22:23]
	v_mul_f64 v[62:63], v[50:51], s[24:25]
	;; [unrolled: 1-line block ×3, first 2 shown]
	v_add_f64 v[71:72], v[95:96], v[71:72]
	v_fma_f64 v[95:96], v[48:49], s[20:21], v[60:61]
	v_add_f64 v[73:74], v[97:98], v[73:74]
	v_fma_f64 v[97:98], v[40:41], s[16:17], -v[42:43]
	v_mul_f64 v[58:59], v[58:59], s[0:1]
	v_fma_f64 v[26:27], v[40:41], s[34:35], -v[111:112]
	v_mul_f64 v[50:51], v[50:51], s[20:21]
	v_add_f64 v[99:100], v[99:100], v[10:11]
	v_fma_f64 v[10:11], v[48:49], s[18:19], v[60:61]
	v_add_f64 v[28:29], v[36:37], v[28:29]
	v_fma_f64 v[40:41], v[40:41], s[16:17], v[42:43]
	v_fma_f64 v[101:102], v[56:57], s[36:37], v[89:90]
	;; [unrolled: 1-line block ×3, first 2 shown]
	v_add_f64 v[34:35], v[44:45], v[34:35]
	v_fma_f64 v[44:45], v[38:39], s[28:29], v[32:33]
	v_add_f64 v[8:9], v[8:9], v[16:17]
	v_fma_f64 v[16:17], v[38:39], s[28:29], -v[32:33]
	v_fma_f64 v[42:43], v[38:39], s[22:23], v[62:63]
	v_fma_f64 v[48:49], v[38:39], s[22:23], -v[62:63]
	v_fma_f64 v[60:61], v[56:57], s[20:21], v[66:67]
	v_add_f64 v[62:63], v[95:96], v[71:72]
	v_fma_f64 v[95:96], v[38:39], s[0:1], -v[105:106]
	v_add_f64 v[73:74], v[97:98], v[73:74]
	v_fma_f64 v[89:90], v[56:57], s[6:7], v[58:59]
	v_add_f64 v[32:33], v[26:27], v[18:19]
	v_fma_f64 v[71:72], v[56:57], s[14:15], v[103:104]
	v_fma_f64 v[97:98], v[38:39], s[10:11], -v[107:108]
	v_fma_f64 v[26:27], v[56:57], s[26:27], v[30:31]
	v_fma_f64 v[30:31], v[56:57], s[24:25], v[30:31]
	v_fma_f64 v[109:110], v[38:39], s[16:17], -v[50:51]
	v_fma_f64 v[66:67], v[56:57], s[18:19], v[66:67]
	v_fma_f64 v[50:51], v[38:39], s[16:17], v[50:51]
	;; [unrolled: 1-line block ×5, first 2 shown]
	v_add_f64 v[58:59], v[10:11], v[28:29]
	v_fma_f64 v[105:106], v[38:39], s[0:1], v[105:106]
	v_add_f64 v[111:112], v[40:41], v[8:9]
	v_add_f64 v[18:19], v[36:37], v[20:21]
	;; [unrolled: 1-line block ×23, first 2 shown]
	v_mul_u32_u24_e32 v56, 0xd0, v52
	v_add3_u32 v56, 0, v56, v70
	ds_write_b128 v56, v[4:7]
	ds_write_b128 v56, v[36:39] offset:16
	ds_write_b128 v56, v[32:35] offset:32
	;; [unrolled: 1-line block ×12, first 2 shown]
.LBB0_19:
	s_or_b32 exec_lo, exec_lo, s33
	v_mul_u32_u24_e32 v0, 9, v52
	s_waitcnt lgkmcnt(0)
	s_barrier
	buffer_gl0_inv
	s_mov_b32 s0, 0x134454ff
	v_lshlrev_b32_e32 v32, 4, v0
	s_mov_b32 s1, 0x3fee6f0e
	s_mov_b32 s4, 0x4755a5e
	;; [unrolled: 1-line block ×4, first 2 shown]
	s_clause 0x8
	global_load_dwordx4 v[0:3], v32, s[8:9] offset:32
	global_load_dwordx4 v[4:7], v32, s[8:9] offset:64
	;; [unrolled: 1-line block ×4, first 2 shown]
	global_load_dwordx4 v[16:19], v32, s[8:9]
	global_load_dwordx4 v[20:23], v32, s[8:9] offset:16
	global_load_dwordx4 v[24:27], v32, s[8:9] offset:48
	;; [unrolled: 1-line block ×4, first 2 shown]
	ds_read_b128 v[36:39], v53 offset:624
	ds_read_b128 v[40:43], v53 offset:1040
	;; [unrolled: 1-line block ×9, first 2 shown]
	s_mov_b32 s9, 0xbfee6f0e
	s_mov_b32 s8, s0
	;; [unrolled: 1-line block ×7, first 2 shown]
	s_waitcnt vmcnt(8) lgkmcnt(8)
	v_mul_f64 v[78:79], v[38:39], v[2:3]
	s_waitcnt vmcnt(7) lgkmcnt(7)
	v_mul_f64 v[80:81], v[42:43], v[6:7]
	v_mul_f64 v[6:7], v[40:41], v[6:7]
	s_waitcnt vmcnt(6) lgkmcnt(6)
	v_mul_f64 v[82:83], v[46:47], v[10:11]
	;; [unrolled: 3-line block ×3, first 2 shown]
	v_mul_f64 v[14:15], v[50:51], v[14:15]
	v_mul_f64 v[2:3], v[36:37], v[2:3]
	s_waitcnt vmcnt(4) lgkmcnt(4)
	v_mul_f64 v[86:87], v[58:59], v[18:19]
	v_mul_f64 v[18:19], v[56:57], v[18:19]
	s_waitcnt vmcnt(3) lgkmcnt(3)
	;; [unrolled: 3-line block ×5, first 2 shown]
	v_mul_f64 v[94:95], v[74:75], v[34:35]
	v_fma_f64 v[36:37], v[36:37], v[0:1], -v[78:79]
	v_fma_f64 v[40:41], v[40:41], v[4:5], -v[80:81]
	v_fma_f64 v[4:5], v[42:43], v[4:5], v[6:7]
	v_fma_f64 v[6:7], v[44:45], v[8:9], -v[82:83]
	v_fma_f64 v[8:9], v[46:47], v[8:9], v[10:11]
	v_fma_f64 v[10:11], v[50:51], v[12:13], v[84:85]
	v_fma_f64 v[12:13], v[48:49], v[12:13], -v[14:15]
	v_fma_f64 v[38:39], v[38:39], v[0:1], v[2:3]
	v_mul_f64 v[14:15], v[76:77], v[34:35]
	v_fma_f64 v[42:43], v[56:57], v[16:17], -v[86:87]
	v_fma_f64 v[16:17], v[58:59], v[16:17], v[18:19]
	v_fma_f64 v[34:35], v[60:61], v[20:21], -v[88:89]
	v_fma_f64 v[20:21], v[62:63], v[20:21], v[22:23]
	;; [unrolled: 2-line block ×4, first 2 shown]
	v_fma_f64 v[30:31], v[76:77], v[32:33], v[94:95]
	ds_read_b128 v[0:3], v69
	s_waitcnt lgkmcnt(0)
	s_barrier
	buffer_gl0_inv
	v_add_f64 v[87:88], v[36:37], -v[40:41]
	v_add_f64 v[91:92], v[40:41], -v[36:37]
	v_add_f64 v[18:19], v[40:41], v[6:7]
	v_add_f64 v[44:45], v[4:5], v[8:9]
	v_add_f64 v[62:63], v[4:5], -v[8:9]
	v_add_f64 v[48:49], v[36:37], v[12:13]
	v_add_f64 v[46:47], v[38:39], v[10:11]
	v_fma_f64 v[14:15], v[74:75], v[32:33], -v[14:15]
	v_add_f64 v[60:61], v[38:39], -v[10:11]
	v_add_f64 v[64:65], v[36:37], -v[12:13]
	;; [unrolled: 1-line block ×6, first 2 shown]
	v_add_f64 v[50:51], v[22:23], v[26:27]
	v_add_f64 v[81:82], v[24:25], v[28:29]
	;; [unrolled: 1-line block ×3, first 2 shown]
	v_add_f64 v[97:98], v[10:11], -v[8:9]
	v_add_f64 v[99:100], v[4:5], -v[38:39]
	;; [unrolled: 1-line block ×3, first 2 shown]
	v_add_f64 v[32:33], v[0:1], v[34:35]
	v_add_f64 v[79:80], v[2:3], v[20:21]
	;; [unrolled: 1-line block ×3, first 2 shown]
	v_add_f64 v[56:57], v[20:21], -v[30:31]
	v_fma_f64 v[18:19], v[18:19], -0.5, v[42:43]
	v_fma_f64 v[44:45], v[44:45], -0.5, v[16:17]
	v_add_f64 v[58:59], v[24:25], -v[28:29]
	v_fma_f64 v[48:49], v[48:49], -0.5, v[42:43]
	v_fma_f64 v[46:47], v[46:47], -0.5, v[16:17]
	v_add_f64 v[73:74], v[34:35], v[14:15]
	v_add_f64 v[16:17], v[16:17], v[38:39]
	v_add_f64 v[69:70], v[34:35], -v[22:23]
	v_add_f64 v[71:72], v[14:15], -v[26:27]
	;; [unrolled: 1-line block ×5, first 2 shown]
	v_fma_f64 v[38:39], v[50:51], -0.5, v[0:1]
	v_fma_f64 v[42:43], v[81:82], -0.5, v[2:3]
	;; [unrolled: 1-line block ×3, first 2 shown]
	v_add_f64 v[50:51], v[87:88], v[89:90]
	v_add_f64 v[81:82], v[95:96], v[97:98]
	v_add_f64 v[77:78], v[26:27], -v[14:15]
	v_add_f64 v[85:86], v[99:100], v[101:102]
	v_add_f64 v[111:112], v[20:21], -v[24:25]
	v_add_f64 v[20:21], v[24:25], -v[20:21]
	v_add_f64 v[22:23], v[32:33], v[22:23]
	v_fma_f64 v[109:110], v[60:61], s[8:9], v[18:19]
	v_fma_f64 v[103:104], v[64:65], s[8:9], v[44:45]
	;; [unrolled: 1-line block ×8, first 2 shown]
	v_fma_f64 v[0:1], v[73:74], -0.5, v[0:1]
	v_add_f64 v[73:74], v[91:92], v[93:94]
	v_add_f64 v[24:25], v[79:80], v[24:25]
	;; [unrolled: 1-line block ×4, first 2 shown]
	v_add_f64 v[113:114], v[30:31], -v[28:29]
	v_add_f64 v[32:33], v[69:70], v[71:72]
	v_fma_f64 v[16:17], v[56:57], s[0:1], v[38:39]
	v_fma_f64 v[38:39], v[56:57], s[8:9], v[38:39]
	v_add_f64 v[115:116], v[28:29], -v[30:31]
	v_add_f64 v[22:23], v[22:23], v[26:27]
	v_fma_f64 v[93:94], v[62:63], s[10:11], v[109:110]
	v_fma_f64 v[87:88], v[66:67], s[10:11], v[103:104]
	;; [unrolled: 1-line block ×14, first 2 shown]
	v_add_f64 v[60:61], v[75:76], v[77:78]
	v_add_f64 v[24:25], v[24:25], v[28:29]
	v_add_f64 v[6:7], v[36:37], v[6:7]
	v_add_f64 v[4:5], v[4:5], v[8:9]
	v_fma_f64 v[8:9], v[58:59], s[4:5], v[16:17]
	v_fma_f64 v[16:17], v[58:59], s[10:11], v[38:39]
	v_add_f64 v[20:21], v[20:21], v[115:116]
	v_add_f64 v[14:15], v[22:23], v[14:15]
	v_fma_f64 v[75:76], v[50:51], s[6:7], v[93:94]
	v_fma_f64 v[66:67], v[81:82], s[6:7], v[87:88]
	;; [unrolled: 1-line block ×8, first 2 shown]
	v_add_f64 v[50:51], v[111:112], v[113:114]
	v_fma_f64 v[26:27], v[56:57], s[4:5], v[40:41]
	v_fma_f64 v[0:1], v[56:57], s[10:11], v[0:1]
	;; [unrolled: 1-line block ×6, first 2 shown]
	v_add_f64 v[22:23], v[24:25], v[30:31]
	v_add_f64 v[6:7], v[6:7], v[12:13]
	;; [unrolled: 1-line block ×3, first 2 shown]
	v_fma_f64 v[24:25], v[32:33], s[6:7], v[8:9]
	v_fma_f64 v[30:31], v[32:33], s[6:7], v[16:17]
	v_mul_f64 v[56:57], v[75:76], s[12:13]
	v_mul_f64 v[34:35], v[66:67], s[4:5]
	;; [unrolled: 1-line block ×8, first 2 shown]
	v_fma_f64 v[26:27], v[60:61], s[6:7], v[26:27]
	v_fma_f64 v[32:33], v[60:61], s[6:7], v[0:1]
	;; [unrolled: 1-line block ×6, first 2 shown]
	v_add_f64 v[0:1], v[14:15], v[6:7]
	v_add_f64 v[2:3], v[22:23], v[10:11]
	v_add_f64 v[4:5], v[14:15], -v[6:7]
	v_add_f64 v[6:7], v[22:23], -v[10:11]
	v_fma_f64 v[28:29], v[18:19], s[12:13], v[34:35]
	v_fma_f64 v[36:37], v[46:47], s[0:1], -v[42:43]
	v_fma_f64 v[42:43], v[66:67], s[12:13], v[58:59]
	v_fma_f64 v[34:35], v[48:49], s[6:7], v[40:41]
	v_fma_f64 v[40:41], v[44:45], s[4:5], -v[56:57]
	v_fma_f64 v[44:45], v[69:70], s[6:7], v[62:63]
	v_fma_f64 v[46:47], v[71:72], s[8:9], -v[64:65]
	v_fma_f64 v[48:49], v[75:76], s[10:11], -v[73:74]
	v_add_f64 v[8:9], v[24:25], v[28:29]
	v_add_f64 v[24:25], v[24:25], -v[28:29]
	v_add_f64 v[16:17], v[32:33], v[36:37]
	v_add_f64 v[10:11], v[60:61], v[42:43]
	;; [unrolled: 1-line block ×7, first 2 shown]
	v_add_f64 v[28:29], v[26:27], -v[34:35]
	v_add_f64 v[26:27], v[60:61], -v[42:43]
	;; [unrolled: 1-line block ×7, first 2 shown]
	ds_write_b128 v53, v[0:3]
	ds_write_b128 v53, v[4:7] offset:1040
	ds_write_b128 v53, v[8:11] offset:208
	;; [unrolled: 1-line block ×9, first 2 shown]
	s_waitcnt lgkmcnt(0)
	s_barrier
	buffer_gl0_inv
	s_and_saveexec_b32 s0, vcc_lo
	s_cbranch_execz .LBB0_21
; %bb.20:
	v_mov_b32_e32 v53, 0
	v_lshl_add_u32 v30, v52, 4, v68
	v_add_nc_u32_e32 v8, 13, v52
	v_add_co_u32 v31, vcc_lo, s2, v54
	v_mov_b32_e32 v9, v53
	v_lshlrev_b64 v[12:13], 4, v[52:53]
	ds_read_b128 v[0:3], v30
	ds_read_b128 v[4:7], v30 offset:208
	v_add_co_ci_u32_e32 v32, vcc_lo, s3, v55, vcc_lo
	v_lshlrev_b64 v[14:15], 4, v[8:9]
	ds_read_b128 v[8:11], v30 offset:416
	v_add_nc_u32_e32 v16, 26, v52
	v_mov_b32_e32 v17, v53
	v_add_co_u32 v20, vcc_lo, v31, v12
	v_add_co_ci_u32_e32 v21, vcc_lo, v32, v13, vcc_lo
	v_lshlrev_b64 v[12:13], 4, v[16:17]
	v_add_nc_u32_e32 v16, 39, v52
	v_add_co_u32 v22, vcc_lo, v31, v14
	v_add_co_ci_u32_e32 v23, vcc_lo, v32, v15, vcc_lo
	v_lshlrev_b64 v[26:27], 4, v[16:17]
	ds_read_b128 v[16:19], v30 offset:832
	v_add_co_u32 v24, vcc_lo, v31, v12
	v_add_nc_u32_e32 v28, 52, v52
	v_mov_b32_e32 v29, v53
	v_add_co_ci_u32_e32 v25, vcc_lo, v32, v13, vcc_lo
	ds_read_b128 v[12:15], v30 offset:624
	s_waitcnt lgkmcnt(4)
	global_store_dwordx4 v[20:21], v[0:3], off
	s_waitcnt lgkmcnt(3)
	global_store_dwordx4 v[22:23], v[4:7], off
	;; [unrolled: 2-line block ×3, first 2 shown]
	v_lshlrev_b64 v[0:1], 4, v[28:29]
	v_add_co_u32 v2, vcc_lo, v31, v26
	v_add_co_ci_u32_e32 v3, vcc_lo, v32, v27, vcc_lo
	v_add_nc_u32_e32 v4, 0x41, v52
	v_mov_b32_e32 v5, v53
	v_add_co_u32 v6, vcc_lo, v31, v0
	v_add_co_ci_u32_e32 v7, vcc_lo, v32, v1, vcc_lo
	v_add_nc_u32_e32 v8, 0x4e, v52
	v_mov_b32_e32 v9, v53
	v_lshlrev_b64 v[4:5], 4, v[4:5]
	s_waitcnt lgkmcnt(1)
	global_store_dwordx4 v[6:7], v[16:19], off
	v_add_nc_u32_e32 v24, 0x68, v52
	v_mov_b32_e32 v25, v53
	v_lshlrev_b64 v[6:7], 4, v[8:9]
	s_waitcnt lgkmcnt(0)
	global_store_dwordx4 v[2:3], v[12:15], off
	v_add_co_u32 v20, vcc_lo, v31, v4
	v_add_nc_u32_e32 v12, 0x5b, v52
	v_mov_b32_e32 v13, v53
	v_add_co_ci_u32_e32 v21, vcc_lo, v32, v5, vcc_lo
	v_add_co_u32 v22, vcc_lo, v31, v6
	ds_read_b128 v[0:3], v30 offset:1040
	v_add_co_ci_u32_e32 v23, vcc_lo, v32, v7, vcc_lo
	ds_read_b128 v[4:7], v30 offset:1248
	ds_read_b128 v[8:11], v30 offset:1456
	v_lshlrev_b64 v[26:27], 4, v[12:13]
	ds_read_b128 v[12:15], v30 offset:1664
	ds_read_b128 v[16:19], v30 offset:1872
	v_add_nc_u32_e32 v52, 0x75, v52
	v_lshlrev_b64 v[24:25], 4, v[24:25]
	v_add_co_u32 v26, vcc_lo, v31, v26
	v_lshlrev_b64 v[28:29], 4, v[52:53]
	v_add_co_ci_u32_e32 v27, vcc_lo, v32, v27, vcc_lo
	v_add_co_u32 v24, vcc_lo, v31, v24
	v_add_co_ci_u32_e32 v25, vcc_lo, v32, v25, vcc_lo
	v_add_co_u32 v28, vcc_lo, v31, v28
	v_add_co_ci_u32_e32 v29, vcc_lo, v32, v29, vcc_lo
	s_waitcnt lgkmcnt(4)
	global_store_dwordx4 v[20:21], v[0:3], off
	s_waitcnt lgkmcnt(3)
	global_store_dwordx4 v[22:23], v[4:7], off
	;; [unrolled: 2-line block ×5, first 2 shown]
.LBB0_21:
	s_endpgm
	.section	.rodata,"a",@progbits
	.p2align	6, 0x0
	.amdhsa_kernel fft_rtc_fwd_len130_factors_13_10_wgs_52_tpt_13_dp_ip_CI_unitstride_sbrr_C2R_dirReg
		.amdhsa_group_segment_fixed_size 0
		.amdhsa_private_segment_fixed_size 0
		.amdhsa_kernarg_size 88
		.amdhsa_user_sgpr_count 6
		.amdhsa_user_sgpr_private_segment_buffer 1
		.amdhsa_user_sgpr_dispatch_ptr 0
		.amdhsa_user_sgpr_queue_ptr 0
		.amdhsa_user_sgpr_kernarg_segment_ptr 1
		.amdhsa_user_sgpr_dispatch_id 0
		.amdhsa_user_sgpr_flat_scratch_init 0
		.amdhsa_user_sgpr_private_segment_size 0
		.amdhsa_wavefront_size32 1
		.amdhsa_uses_dynamic_stack 0
		.amdhsa_system_sgpr_private_segment_wavefront_offset 0
		.amdhsa_system_sgpr_workgroup_id_x 1
		.amdhsa_system_sgpr_workgroup_id_y 0
		.amdhsa_system_sgpr_workgroup_id_z 0
		.amdhsa_system_sgpr_workgroup_info 0
		.amdhsa_system_vgpr_workitem_id 0
		.amdhsa_next_free_vgpr 131
		.amdhsa_next_free_sgpr 42
		.amdhsa_reserve_vcc 1
		.amdhsa_reserve_flat_scratch 0
		.amdhsa_float_round_mode_32 0
		.amdhsa_float_round_mode_16_64 0
		.amdhsa_float_denorm_mode_32 3
		.amdhsa_float_denorm_mode_16_64 3
		.amdhsa_dx10_clamp 1
		.amdhsa_ieee_mode 1
		.amdhsa_fp16_overflow 0
		.amdhsa_workgroup_processor_mode 1
		.amdhsa_memory_ordered 1
		.amdhsa_forward_progress 0
		.amdhsa_shared_vgpr_count 0
		.amdhsa_exception_fp_ieee_invalid_op 0
		.amdhsa_exception_fp_denorm_src 0
		.amdhsa_exception_fp_ieee_div_zero 0
		.amdhsa_exception_fp_ieee_overflow 0
		.amdhsa_exception_fp_ieee_underflow 0
		.amdhsa_exception_fp_ieee_inexact 0
		.amdhsa_exception_int_div_zero 0
	.end_amdhsa_kernel
	.text
.Lfunc_end0:
	.size	fft_rtc_fwd_len130_factors_13_10_wgs_52_tpt_13_dp_ip_CI_unitstride_sbrr_C2R_dirReg, .Lfunc_end0-fft_rtc_fwd_len130_factors_13_10_wgs_52_tpt_13_dp_ip_CI_unitstride_sbrr_C2R_dirReg
                                        ; -- End function
	.section	.AMDGPU.csdata,"",@progbits
; Kernel info:
; codeLenInByte = 8648
; NumSgprs: 44
; NumVgprs: 131
; ScratchSize: 0
; MemoryBound: 0
; FloatMode: 240
; IeeeMode: 1
; LDSByteSize: 0 bytes/workgroup (compile time only)
; SGPRBlocks: 5
; VGPRBlocks: 16
; NumSGPRsForWavesPerEU: 44
; NumVGPRsForWavesPerEU: 131
; Occupancy: 7
; WaveLimiterHint : 1
; COMPUTE_PGM_RSRC2:SCRATCH_EN: 0
; COMPUTE_PGM_RSRC2:USER_SGPR: 6
; COMPUTE_PGM_RSRC2:TRAP_HANDLER: 0
; COMPUTE_PGM_RSRC2:TGID_X_EN: 1
; COMPUTE_PGM_RSRC2:TGID_Y_EN: 0
; COMPUTE_PGM_RSRC2:TGID_Z_EN: 0
; COMPUTE_PGM_RSRC2:TIDIG_COMP_CNT: 0
	.text
	.p2alignl 6, 3214868480
	.fill 48, 4, 3214868480
	.type	__hip_cuid_7ab057e44f45c20e,@object ; @__hip_cuid_7ab057e44f45c20e
	.section	.bss,"aw",@nobits
	.globl	__hip_cuid_7ab057e44f45c20e
__hip_cuid_7ab057e44f45c20e:
	.byte	0                               ; 0x0
	.size	__hip_cuid_7ab057e44f45c20e, 1

	.ident	"AMD clang version 19.0.0git (https://github.com/RadeonOpenCompute/llvm-project roc-6.4.0 25133 c7fe45cf4b819c5991fe208aaa96edf142730f1d)"
	.section	".note.GNU-stack","",@progbits
	.addrsig
	.addrsig_sym __hip_cuid_7ab057e44f45c20e
	.amdgpu_metadata
---
amdhsa.kernels:
  - .args:
      - .actual_access:  read_only
        .address_space:  global
        .offset:         0
        .size:           8
        .value_kind:     global_buffer
      - .offset:         8
        .size:           8
        .value_kind:     by_value
      - .actual_access:  read_only
        .address_space:  global
        .offset:         16
        .size:           8
        .value_kind:     global_buffer
      - .actual_access:  read_only
        .address_space:  global
        .offset:         24
        .size:           8
        .value_kind:     global_buffer
      - .offset:         32
        .size:           8
        .value_kind:     by_value
      - .actual_access:  read_only
        .address_space:  global
        .offset:         40
        .size:           8
        .value_kind:     global_buffer
      - .actual_access:  read_only
        .address_space:  global
        .offset:         48
        .size:           8
        .value_kind:     global_buffer
      - .offset:         56
        .size:           4
        .value_kind:     by_value
      - .actual_access:  read_only
        .address_space:  global
        .offset:         64
        .size:           8
        .value_kind:     global_buffer
      - .actual_access:  read_only
        .address_space:  global
        .offset:         72
        .size:           8
        .value_kind:     global_buffer
      - .address_space:  global
        .offset:         80
        .size:           8
        .value_kind:     global_buffer
    .group_segment_fixed_size: 0
    .kernarg_segment_align: 8
    .kernarg_segment_size: 88
    .language:       OpenCL C
    .language_version:
      - 2
      - 0
    .max_flat_workgroup_size: 52
    .name:           fft_rtc_fwd_len130_factors_13_10_wgs_52_tpt_13_dp_ip_CI_unitstride_sbrr_C2R_dirReg
    .private_segment_fixed_size: 0
    .sgpr_count:     44
    .sgpr_spill_count: 0
    .symbol:         fft_rtc_fwd_len130_factors_13_10_wgs_52_tpt_13_dp_ip_CI_unitstride_sbrr_C2R_dirReg.kd
    .uniform_work_group_size: 1
    .uses_dynamic_stack: false
    .vgpr_count:     131
    .vgpr_spill_count: 0
    .wavefront_size: 32
    .workgroup_processor_mode: 1
amdhsa.target:   amdgcn-amd-amdhsa--gfx1030
amdhsa.version:
  - 1
  - 2
...

	.end_amdgpu_metadata
